;; amdgpu-corpus repo=zjin-lcf/HeCBench kind=compiled arch=gfx90a opt=O3
	.text
	.amdgcn_target "amdgcn-amd-amdhsa--gfx90a"
	.amdhsa_code_object_version 6
	.protected	_Z19kernel_gpupcg_setupPmS_imm ; -- Begin function _Z19kernel_gpupcg_setupPmS_imm
	.globl	_Z19kernel_gpupcg_setupPmS_imm
	.p2align	8
	.type	_Z19kernel_gpupcg_setupPmS_imm,@function
_Z19kernel_gpupcg_setupPmS_imm:         ; @_Z19kernel_gpupcg_setupPmS_imm
; %bb.0:
	s_load_dword s0, s[4:5], 0x34
	s_load_dword s1, s[4:5], 0x10
	s_waitcnt lgkmcnt(0)
	s_and_b32 s0, s0, 0xffff
	s_mul_i32 s6, s6, s0
	v_add_u32_e32 v0, s6, v0
	v_cmp_gt_i32_e32 vcc, s1, v0
	s_and_saveexec_b64 s[0:1], vcc
	s_cbranch_execz .LBB0_2
; %bb.1:
	s_load_dwordx4 s[0:3], s[4:5], 0x18
	s_load_dwordx4 s[8:11], s[4:5], 0x0
	v_ashrrev_i32_e32 v1, 31, v0
	v_lshlrev_b64 v[4:5], 3, v[0:1]
	s_mov_b32 s5, 0
	s_waitcnt lgkmcnt(0)
	s_mul_i32 s4, s2, 0xc6a4a793
	s_mul_hi_u32 s6, s2, 0x5bd1e995
	s_add_i32 s4, s6, s4
	s_mul_i32 s3, s3, 0x5bd1e995
	s_add_i32 s3, s4, s3
	s_mul_i32 s2, s2, 0x5bd1e995
	s_lshr_b32 s4, s3, 15
	s_xor_b32 s2, s4, s2
	s_mul_i32 s4, s2, 0xc6a4a793
	s_mul_hi_u32 s6, s2, 0x5bd1e995
	s_add_i32 s4, s6, s4
	s_mul_i32 s3, s3, 0x5bd1e995
	s_mul_i32 s2, s2, 0x5bd1e995
	s_add_i32 s4, s4, s3
	s_xor_b32 s2, s2, 0xde8f4c87
	s_xor_b32 s3, s4, 0x35253c9a
	s_mul_i32 s4, s2, 0xc6a4a793
	s_mul_hi_u32 s6, s2, 0x5bd1e995
	s_add_i32 s4, s6, s4
	s_mul_i32 s3, s3, 0x5bd1e995
	s_add_i32 s3, s4, s3
	s_mul_i32 s2, s2, 0x5bd1e995
	s_lshr_b32 s4, s3, 15
	s_xor_b32 s2, s4, s2
	s_mul_i32 s4, s2, 0xc6a4a793
	s_mul_hi_u32 s6, s2, 0x5bd1e995
	s_add_i32 s4, s6, s4
	s_mul_i32 s3, s3, 0x5bd1e995
	s_add_i32 s3, s4, s3
	s_mul_i32 s2, s2, 0x5bd1e995
	s_lshr_b32 s4, s3, 15
	v_mov_b32_e32 v3, s9
	v_add_co_u32_e32 v6, vcc, s8, v4
	s_xor_b64 s[2:3], s[4:5], s[2:3]
	v_addc_co_u32_e32 v7, vcc, v3, v5, vcc
	v_mov_b32_e32 v2, 0
	v_mov_b32_e32 v3, s11
	v_add_co_u32_e32 v4, vcc, s10, v4
	s_lshl_b64 s[2:3], s[2:3], 1
	v_addc_co_u32_e32 v5, vcc, v3, v5, vcc
	v_mov_b32_e32 v3, v2
	s_or_b32 s2, s2, 1
	global_store_dwordx2 v[6:7], v[2:3], off
	v_pk_mov_b32 v[2:3], s[2:3], s[2:3] op_sel:[0,1]
	global_store_dwordx2 v[4:5], v[2:3], off
	global_load_dwordx2 v[2:3], v[6:7], off
	v_mov_b32_e32 v8, s1
	v_add_co_u32_e32 v0, vcc, s0, v0
	s_mov_b32 s4, 0x5bd1e995
	s_mov_b32 s5, 0xc6a4a793
	v_addc_co_u32_e32 v8, vcc, v1, v8, vcc
	v_mul_lo_u32 v9, v0, s5
	v_mad_u64_u32 v[0:1], s[0:1], v0, s4, 0
	v_mul_lo_u32 v8, v8, s4
	v_add3_u32 v1, v1, v9, v8
	v_lshrrev_b32_e32 v8, 15, v1
	v_xor_b32_e32 v0, v8, v0
	v_mul_lo_u32 v9, v1, s4
	v_mul_lo_u32 v8, v0, s5
	v_mad_u64_u32 v[0:1], s[0:1], v0, s4, 0
	v_add3_u32 v1, v1, v8, v9
	v_xor_b32_e32 v0, 0xde8f4cb9, v0
	v_xor_b32_e32 v8, 0x35253c9a, v1
	v_mul_lo_u32 v9, v0, s5
	v_mad_u64_u32 v[0:1], s[0:1], v0, s4, 0
	v_mul_lo_u32 v8, v8, s4
	v_add3_u32 v1, v1, v9, v8
	v_lshrrev_b32_e32 v8, 15, v1
	v_xor_b32_e32 v0, v8, v0
	v_mul_lo_u32 v9, v1, s4
	v_mul_lo_u32 v8, v0, s5
	v_mad_u64_u32 v[0:1], s[0:1], v0, s4, 0
	v_add3_u32 v1, v1, v8, v9
	v_lshrrev_b32_e32 v8, 15, v1
	v_xor_b32_e32 v0, v8, v0
	v_mov_b32_e32 v8, s3
	v_add_co_u32_e32 v0, vcc, s2, v0
	s_mov_b32 s6, 0x4c957f2d
	s_mov_b32 s7, 0x5851f42d
	v_addc_co_u32_e32 v1, vcc, v1, v8, vcc
	s_waitcnt vmcnt(0)
	v_mad_u64_u32 v[0:1], s[0:1], v2, s6, v[0:1]
	v_mul_lo_u32 v2, v2, s7
	v_mul_lo_u32 v3, v3, s6
	v_add3_u32 v1, v3, v1, v2
	global_store_dwordx2 v[6:7], v[0:1], off
	global_load_dwordx2 v[2:3], v[4:5], off
	v_mul_lo_u32 v4, v0, s7
	v_mul_lo_u32 v5, v1, s6
	s_waitcnt vmcnt(0)
	v_mad_u64_u32 v[0:1], s[0:1], v0, s6, v[2:3]
	v_add3_u32 v1, v5, v1, v4
	global_store_dwordx2 v[6:7], v[0:1], off
.LBB0_2:
	s_endpgm
	.section	.rodata,"a",@progbits
	.p2align	6, 0x0
	.amdhsa_kernel _Z19kernel_gpupcg_setupPmS_imm
		.amdhsa_group_segment_fixed_size 0
		.amdhsa_private_segment_fixed_size 0
		.amdhsa_kernarg_size 296
		.amdhsa_user_sgpr_count 6
		.amdhsa_user_sgpr_private_segment_buffer 1
		.amdhsa_user_sgpr_dispatch_ptr 0
		.amdhsa_user_sgpr_queue_ptr 0
		.amdhsa_user_sgpr_kernarg_segment_ptr 1
		.amdhsa_user_sgpr_dispatch_id 0
		.amdhsa_user_sgpr_flat_scratch_init 0
		.amdhsa_user_sgpr_kernarg_preload_length 0
		.amdhsa_user_sgpr_kernarg_preload_offset 0
		.amdhsa_user_sgpr_private_segment_size 0
		.amdhsa_uses_dynamic_stack 0
		.amdhsa_system_sgpr_private_segment_wavefront_offset 0
		.amdhsa_system_sgpr_workgroup_id_x 1
		.amdhsa_system_sgpr_workgroup_id_y 0
		.amdhsa_system_sgpr_workgroup_id_z 0
		.amdhsa_system_sgpr_workgroup_info 0
		.amdhsa_system_vgpr_workitem_id 0
		.amdhsa_next_free_vgpr 10
		.amdhsa_next_free_sgpr 12
		.amdhsa_accum_offset 12
		.amdhsa_reserve_vcc 1
		.amdhsa_reserve_flat_scratch 0
		.amdhsa_float_round_mode_32 0
		.amdhsa_float_round_mode_16_64 0
		.amdhsa_float_denorm_mode_32 3
		.amdhsa_float_denorm_mode_16_64 3
		.amdhsa_dx10_clamp 1
		.amdhsa_ieee_mode 1
		.amdhsa_fp16_overflow 0
		.amdhsa_tg_split 0
		.amdhsa_exception_fp_ieee_invalid_op 0
		.amdhsa_exception_fp_denorm_src 0
		.amdhsa_exception_fp_ieee_div_zero 0
		.amdhsa_exception_fp_ieee_overflow 0
		.amdhsa_exception_fp_ieee_underflow 0
		.amdhsa_exception_fp_ieee_inexact 0
		.amdhsa_exception_int_div_zero 0
	.end_amdhsa_kernel
	.text
.Lfunc_end0:
	.size	_Z19kernel_gpupcg_setupPmS_imm, .Lfunc_end0-_Z19kernel_gpupcg_setupPmS_imm
                                        ; -- End function
	.section	.AMDGPU.csdata,"",@progbits
; Kernel info:
; codeLenInByte = 680
; NumSgprs: 16
; NumVgprs: 10
; NumAgprs: 0
; TotalNumVgprs: 10
; ScratchSize: 0
; MemoryBound: 0
; FloatMode: 240
; IeeeMode: 1
; LDSByteSize: 0 bytes/workgroup (compile time only)
; SGPRBlocks: 1
; VGPRBlocks: 1
; NumSGPRsForWavesPerEU: 16
; NumVGPRsForWavesPerEU: 10
; AccumOffset: 12
; Occupancy: 8
; WaveLimiterHint : 0
; COMPUTE_PGM_RSRC2:SCRATCH_EN: 0
; COMPUTE_PGM_RSRC2:USER_SGPR: 6
; COMPUTE_PGM_RSRC2:TRAP_HANDLER: 0
; COMPUTE_PGM_RSRC2:TGID_X_EN: 1
; COMPUTE_PGM_RSRC2:TGID_Y_EN: 0
; COMPUTE_PGM_RSRC2:TGID_Z_EN: 0
; COMPUTE_PGM_RSRC2:TIDIG_COMP_CNT: 0
; COMPUTE_PGM_RSRC3_GFX90A:ACCUM_OFFSET: 2
; COMPUTE_PGM_RSRC3_GFX90A:TG_SPLIT: 0
	.text
	.protected	_Z17kernel_metropolisiiPiPKiffPmS2_i ; -- Begin function _Z17kernel_metropolisiiPiPKiffPmS2_i
	.globl	_Z17kernel_metropolisiiPiPKiffPmS2_i
	.p2align	8
	.type	_Z17kernel_metropolisiiPiPKiffPmS2_i,@function
_Z17kernel_metropolisiiPiPKiffPmS2_i:   ; @_Z17kernel_metropolisiiPiPKiffPmS2_i
; %bb.0:
	s_load_dword s9, s[4:5], 0x30
	s_load_dword s16, s[4:5], 0x4
	s_load_dwordx4 s[0:3], s[4:5], 0x8
	s_add_i32 s10, s6, s8
	v_bfe_u32 v21, v0, 10, 10
	s_waitcnt lgkmcnt(0)
	s_add_i32 s10, s10, s9
	s_lshl_b32 s10, s10, 3
	s_lshl_b32 s9, s7, 4
	s_and_b32 s10, s10, 8
	s_or_b32 s18, s10, s9
	s_lshl_b32 s9, s8, 2
	v_bfe_u32 v19, v0, 20, 10
	v_lshlrev_b32_e32 v17, 1, v21
	v_add_u32_e32 v1, s9, v19
	v_and_b32_e32 v14, 0x3ff, v0
	v_add_u32_e32 v0, s18, v17
	v_mul_lo_u32 v5, v1, s16
	s_lshl_b32 s17, s6, 4
	v_mul_lo_u32 v23, v5, s16
	v_mul_lo_u32 v26, v0, s16
	v_add_u32_e32 v22, s17, v14
	v_or_b32_e32 v2, 1, v0
	v_add_u32_e32 v6, v26, v23
	v_add_u32_e32 v0, v6, v22
	v_mul_lo_u32 v25, v2, s16
	v_ashrrev_i32_e32 v1, 31, v0
	v_add_u32_e32 v4, v25, v23
	v_lshlrev_b64 v[8:9], 2, v[0:1]
	v_add_u32_e32 v2, v4, v22
	v_mov_b32_e32 v1, s1
	v_add_co_u32_e32 v0, vcc, s0, v8
	v_ashrrev_i32_e32 v3, 31, v2
	v_addc_co_u32_e32 v1, vcc, v1, v9, vcc
	v_lshlrev_b64 v[10:11], 2, v[2:3]
	global_load_dword v7, v[0:1], off
	v_mov_b32_e32 v3, s1
	v_add_co_u32_e32 v2, vcc, s0, v10
	v_addc_co_u32_e32 v3, vcc, v3, v11, vcc
	global_load_dword v16, v[2:3], off
	v_mul_u32_u24_e32 v20, 0xb4, v19
	v_mad_u32_u24 v12, v21, 36, v20
	v_add_u32_e32 v15, 1, v14
	v_add_u32_e32 v28, 18, v12
	v_add_u32_e32 v29, 36, v12
	v_add_lshl_u32 v12, v28, v15, 2
	v_add_co_u32_e32 v8, vcc, s2, v8
	v_add_lshl_u32 v13, v29, v15, 2
	v_mul_u32_u24_e32 v27, 36, v21
	s_waitcnt vmcnt(1)
	ds_write_b32 v12, v7 offset:720
	v_mov_b32_e32 v7, s3
	v_addc_co_u32_e32 v9, vcc, v7, v9, vcc
	v_add_co_u32_e32 v10, vcc, s2, v10
	s_waitcnt vmcnt(0)
	ds_write_b32 v13, v16 offset:720
	v_addc_co_u32_e32 v11, vcc, v7, v11, vcc
	global_load_dword v24, v[8:9], off
	global_load_dword v16, v[10:11], off
	v_cmp_lt_i32_e32 vcc, 2, v21
	s_mov_b64 s[2:3], 0
                                        ; implicit-def: $vgpr8
                                        ; implicit-def: $vgpr7
	s_and_saveexec_b64 s[10:11], vcc
	s_xor_b64 s[10:11], exec, s[10:11]
	s_cbranch_execnz .LBB1_31
; %bb.1:
	s_or_saveexec_b64 s[10:11], s[10:11]
	v_add_u32_e32 v18, 0xb4, v20
	s_xor_b64 exec, exec, s[10:11]
	s_cbranch_execnz .LBB1_34
.LBB1_2:
	s_or_b64 exec, exec, s[10:11]
	s_and_saveexec_b64 s[10:11], s[2:3]
	s_cbranch_execz .LBB1_4
.LBB1_3:
	v_add_u32_e32 v8, v8, v22
	v_ashrrev_i32_e32 v9, 31, v8
	v_lshlrev_b64 v[8:9], 2, v[8:9]
	v_mov_b32_e32 v5, s1
	v_add_co_u32_e32 v8, vcc, s0, v8
	v_addc_co_u32_e32 v9, vcc, v5, v9, vcc
	global_load_dword v5, v[8:9], off
	v_lshlrev_b32_e32 v7, 2, v7
	s_waitcnt vmcnt(0)
	ds_write_b32 v7, v5
.LBB1_4:
	s_or_b64 exec, exec, s[10:11]
	v_cmp_lt_i32_e32 vcc, 14, v14
	s_and_saveexec_b64 s[2:3], vcc
	s_xor_b64 s[2:3], exec, s[2:3]
	s_cbranch_execz .LBB1_11
; %bb.5:
	v_cmp_eq_u32_e32 vcc, 15, v14
	s_and_saveexec_b64 s[10:11], vcc
	s_cbranch_execz .LBB1_10
; %bb.6:
	s_load_dword s12, s[4:5], 0x38
	s_waitcnt lgkmcnt(0)
	s_add_i32 s12, s12, -1
	s_cmp_lg_u32 s6, s12
	s_mov_b64 s[12:13], -1
	s_cbranch_scc0 .LBB1_8
; %bb.7:
	s_ashr_i32 s12, s17, 31
	v_ashrrev_i32_e32 v5, 31, v6
	v_mov_b32_e32 v7, s12
	v_add_co_u32_e32 v8, vcc, s17, v6
	v_addc_co_u32_e32 v9, vcc, v5, v7, vcc
	v_lshlrev_b64 v[8:9], 2, v[8:9]
	v_mov_b32_e32 v5, s1
	v_add_co_u32_e32 v8, vcc, s0, v8
	v_addc_co_u32_e32 v9, vcc, v5, v9, vcc
	v_ashrrev_i32_e32 v7, 31, v4
	v_mov_b32_e32 v11, s12
	v_add_co_u32_e32 v10, vcc, s17, v4
	v_addc_co_u32_e32 v11, vcc, v7, v11, vcc
	v_lshlrev_b64 v[10:11], 2, v[10:11]
	v_add_co_u32_e32 v10, vcc, s0, v10
	v_addc_co_u32_e32 v11, vcc, v5, v11, vcc
	global_load_dword v5, v[8:9], off offset:64
	global_load_dword v7, v[10:11], off offset:64
	v_lshlrev_b32_e32 v8, 2, v28
	v_lshlrev_b32_e32 v9, 2, v29
	s_mov_b64 s[12:13], 0
	s_waitcnt vmcnt(1)
	ds_write_b32 v8, v5 offset:788
	s_waitcnt vmcnt(0)
	ds_write_b32 v9, v7 offset:788
.LBB1_8:
	s_andn2_b64 vcc, exec, s[12:13]
	s_cbranch_vccnz .LBB1_10
; %bb.9:
	v_ashrrev_i32_e32 v7, 31, v6
	v_lshlrev_b64 v[6:7], 2, v[6:7]
	v_mov_b32_e32 v8, s1
	v_add_co_u32_e32 v6, vcc, s0, v6
	v_ashrrev_i32_e32 v5, 31, v4
	v_addc_co_u32_e32 v7, vcc, v8, v7, vcc
	v_lshlrev_b64 v[4:5], 2, v[4:5]
	v_add_co_u32_e32 v4, vcc, s0, v4
	v_addc_co_u32_e32 v5, vcc, v8, v5, vcc
	global_load_dword v8, v[6:7], off
	global_load_dword v9, v[4:5], off
	v_lshlrev_b32_e32 v4, 2, v28
	v_lshlrev_b32_e32 v5, 2, v29
	s_waitcnt vmcnt(1)
	ds_write_b32 v4, v8 offset:788
	s_waitcnt vmcnt(0)
	ds_write_b32 v5, v9 offset:788
.LBB1_10:
	s_or_b64 exec, exec, s[10:11]
                                        ; implicit-def: $vgpr6
                                        ; implicit-def: $vgpr4
                                        ; implicit-def: $vgpr28
                                        ; implicit-def: $vgpr29
.LBB1_11:
	s_andn2_saveexec_b64 s[2:3], s[2:3]
	s_cbranch_execz .LBB1_17
; %bb.12:
	v_cmp_eq_u32_e32 vcc, 0, v14
	s_and_saveexec_b64 s[10:11], vcc
	s_cbranch_execz .LBB1_16
; %bb.13:
	s_cmp_lg_u32 s6, 0
	v_lshlrev_b32_e32 v5, 2, v28
	v_lshlrev_b32_e32 v7, 2, v29
	v_ashrrev_i32_e32 v9, 31, v6
	v_ashrrev_i32_e32 v8, 31, v4
	s_cbranch_scc0 .LBB1_37
; %bb.14:
	s_ashr_i32 s6, s17, 31
	v_mov_b32_e32 v11, s6
	v_add_co_u32_e32 v10, vcc, s17, v6
	v_addc_co_u32_e32 v11, vcc, v9, v11, vcc
	v_lshlrev_b64 v[10:11], 2, v[10:11]
	v_mov_b32_e32 v30, s1
	v_add_co_u32_e32 v10, vcc, s0, v10
	v_addc_co_u32_e32 v11, vcc, v30, v11, vcc
	v_mov_b32_e32 v29, s6
	v_add_co_u32_e32 v28, vcc, s17, v4
	v_addc_co_u32_e32 v29, vcc, v8, v29, vcc
	v_lshlrev_b64 v[28:29], 2, v[28:29]
	v_add_co_u32_e32 v28, vcc, s0, v28
	v_addc_co_u32_e32 v29, vcc, v30, v29, vcc
	global_load_dword v30, v[10:11], off offset:-4
	global_load_dword v31, v[28:29], off offset:-4
	s_waitcnt vmcnt(1)
	ds_write_b32 v5, v30 offset:720
	s_waitcnt vmcnt(0)
	ds_write_b32 v7, v31 offset:720
	s_cbranch_execnz .LBB1_16
.LBB1_15:
	s_ashr_i32 s6, s16, 31
	v_mov_b32_e32 v11, s6
	v_add_co_u32_e32 v10, vcc, s16, v6
	v_addc_co_u32_e32 v11, vcc, v9, v11, vcc
	v_lshlrev_b64 v[10:11], 2, v[10:11]
	v_mov_b32_e32 v6, s1
	v_add_co_u32_e32 v10, vcc, s0, v10
	v_addc_co_u32_e32 v11, vcc, v6, v11, vcc
	v_mov_b32_e32 v9, s6
	v_add_co_u32_e32 v28, vcc, s16, v4
	v_addc_co_u32_e32 v29, vcc, v8, v9, vcc
	v_lshlrev_b64 v[8:9], 2, v[28:29]
	v_add_co_u32_e32 v8, vcc, s0, v8
	v_addc_co_u32_e32 v9, vcc, v6, v9, vcc
	global_load_dword v4, v[10:11], off offset:-4
	global_load_dword v6, v[8:9], off offset:-4
	s_waitcnt vmcnt(1)
	ds_write_b32 v5, v4 offset:720
	s_waitcnt vmcnt(0)
	ds_write_b32 v7, v6 offset:720
.LBB1_16:
	s_or_b64 exec, exec, s[10:11]
.LBB1_17:
	s_or_b64 exec, exec, s[2:3]
	v_cmp_lt_i32_e32 vcc, 2, v19
	s_and_saveexec_b64 s[2:3], vcc
	s_xor_b64 s[2:3], exec, s[2:3]
	s_cbranch_execz .LBB1_24
; %bb.18:
	v_cmp_eq_u32_e32 vcc, 3, v19
	s_and_saveexec_b64 s[10:11], vcc
	s_cbranch_execz .LBB1_23
; %bb.19:
	s_load_dword s6, s[4:5], 0x40
	s_mov_b64 s[12:13], -1
	v_add_lshl_u32 v4, v14, v27, 2
	s_waitcnt lgkmcnt(0)
	s_add_i32 s6, s6, -1
	s_cmp_lg_u32 s8, s6
	s_cbranch_scc0 .LBB1_21
; %bb.20:
	s_add_i32 s6, s9, 4
	s_mul_i32 s12, s16, s16
	s_mul_i32 s12, s12, s6
	v_add_u32_e32 v5, s12, v22
	v_add_u32_e32 v6, v5, v26
	v_ashrrev_i32_e32 v7, 31, v6
	v_lshlrev_b64 v[6:7], 2, v[6:7]
	v_add_u32_e32 v8, v5, v25
	v_mov_b32_e32 v10, s1
	v_add_co_u32_e32 v6, vcc, s0, v6
	v_ashrrev_i32_e32 v9, 31, v8
	v_addc_co_u32_e32 v7, vcc, v10, v7, vcc
	v_lshlrev_b64 v[8:9], 2, v[8:9]
	v_add_co_u32_e32 v8, vcc, s0, v8
	v_addc_co_u32_e32 v9, vcc, v10, v9, vcc
	global_load_dword v5, v[6:7], off
	global_load_dword v10, v[8:9], off
	v_add_u32_e32 v6, 0xc00, v4
	s_mov_b64 s[12:13], 0
	s_waitcnt vmcnt(0)
	ds_write2_b32 v6, v5, v10 offset0:151 offset1:169
.LBB1_21:
	s_andn2_b64 vcc, exec, s[12:13]
	s_cbranch_vccnz .LBB1_23
; %bb.22:
	v_add_u32_e32 v6, v26, v22
	v_ashrrev_i32_e32 v7, 31, v6
	v_lshlrev_b64 v[6:7], 2, v[6:7]
	v_add_u32_e32 v8, v25, v22
	v_mov_b32_e32 v5, s1
	v_add_co_u32_e32 v6, vcc, s0, v6
	v_ashrrev_i32_e32 v9, 31, v8
	v_addc_co_u32_e32 v7, vcc, v5, v7, vcc
	v_lshlrev_b64 v[8:9], 2, v[8:9]
	v_add_co_u32_e32 v8, vcc, s0, v8
	v_addc_co_u32_e32 v9, vcc, v5, v9, vcc
	global_load_dword v5, v[6:7], off
	global_load_dword v10, v[8:9], off
	v_add_u32_e32 v4, 0xc00, v4
	s_waitcnt vmcnt(0)
	ds_write2_b32 v4, v5, v10 offset0:151 offset1:169
.LBB1_23:
	s_or_b64 exec, exec, s[10:11]
                                        ; implicit-def: $vgpr26
                                        ; implicit-def: $vgpr25
                                        ; implicit-def: $vgpr27
.LBB1_24:
	s_andn2_saveexec_b64 s[2:3], s[2:3]
	s_cbranch_execz .LBB1_30
; %bb.25:
	v_cmp_eq_u32_e32 vcc, 0, v19
	s_and_saveexec_b64 s[10:11], vcc
	s_cbranch_execz .LBB1_29
; %bb.26:
	s_cmp_lg_u32 s8, 0
	s_mul_i32 s6, s16, s16
	v_add_lshl_u32 v4, v27, v15, 2
	s_cbranch_scc0 .LBB1_38
; %bb.27:
	s_add_i32 s9, s9, -1
	s_mul_i32 s8, s6, s9
	v_add_u32_e32 v5, s8, v22
	v_add_u32_e32 v6, v5, v26
	v_ashrrev_i32_e32 v7, 31, v6
	v_lshlrev_b64 v[6:7], 2, v[6:7]
	v_add_u32_e32 v8, v5, v25
	v_mov_b32_e32 v10, s1
	v_add_co_u32_e32 v6, vcc, s0, v6
	v_ashrrev_i32_e32 v9, 31, v8
	v_addc_co_u32_e32 v7, vcc, v10, v7, vcc
	v_lshlrev_b64 v[8:9], 2, v[8:9]
	v_add_co_u32_e32 v8, vcc, s0, v8
	v_addc_co_u32_e32 v9, vcc, v10, v9, vcc
	global_load_dword v5, v[6:7], off
	global_load_dword v10, v[8:9], off
	s_waitcnt vmcnt(0)
	ds_write2_b32 v4, v5, v10 offset0:18 offset1:36
	s_cbranch_execnz .LBB1_29
.LBB1_28:
	s_add_i32 s8, s16, -1
	s_mul_i32 s6, s6, s8
	v_add_u32_e32 v5, s6, v22
	v_add_u32_e32 v6, v5, v26
	v_ashrrev_i32_e32 v7, 31, v6
	v_lshlrev_b64 v[6:7], 2, v[6:7]
	v_add_u32_e32 v8, v5, v25
	v_mov_b32_e32 v10, s1
	v_add_co_u32_e32 v6, vcc, s0, v6
	v_ashrrev_i32_e32 v9, 31, v8
	v_addc_co_u32_e32 v7, vcc, v10, v7, vcc
	v_lshlrev_b64 v[8:9], 2, v[8:9]
	v_add_co_u32_e32 v8, vcc, s0, v8
	v_addc_co_u32_e32 v9, vcc, v10, v9, vcc
	global_load_dword v5, v[6:7], off
	global_load_dword v10, v[8:9], off
	s_waitcnt vmcnt(0)
	ds_write2_b32 v4, v5, v10 offset0:18 offset1:36
.LBB1_29:
	s_or_b64 exec, exec, s[10:11]
.LBB1_30:
	s_or_b64 exec, exec, s[2:3]
	v_ashrrev_i32_e32 v4, 31, v23
	s_lshl_b32 s6, s7, 2
	v_lshrrev_b32_e32 v4, 30, v4
	s_and_b32 s6, s6, 0x7ffffffc
	s_load_dwordx4 s[0:3], s[4:5], 0x20
	v_add_u32_e32 v4, v23, v4
	v_add_u32_e32 v5, s6, v21
	v_ashrrev_i32_e32 v4, 2, v4
	v_mul_lo_u32 v5, v5, s16
	v_add3_u32 v4, v5, v22, v4
	v_ashrrev_i32_e32 v5, 31, v4
	v_lshlrev_b64 v[6:7], 3, v[4:5]
	s_waitcnt lgkmcnt(0)
	v_mov_b32_e32 v5, s1
	v_add_co_u32_e32 v4, vcc, s0, v6
	v_addc_co_u32_e32 v5, vcc, v5, v7, vcc
	global_load_dwordx2 v[10:11], v[4:5], off
	v_mov_b32_e32 v8, s3
	v_add_co_u32_e32 v6, vcc, s2, v6
	v_addc_co_u32_e32 v7, vcc, v8, v7, vcc
	global_load_dwordx2 v[8:9], v[6:7], off
	v_add_u32_e32 v19, v14, v19
	v_add_u32_e32 v26, v20, v15
	v_and_or_b32 v17, v19, 1, v17
	v_add_u32_e32 v25, 2, v14
	v_add_u32_e32 v27, v14, v20
	;; [unrolled: 1-line block ×3, first 2 shown]
	v_mul_u32_u24_e32 v20, 18, v17
	v_mad_u32_u24 v21, v17, 18, 18
	v_mad_u32_u24 v23, v17, 18, v18
	v_add_lshl_u32 v28, v23, v14, 2
	v_add_lshl_u32 v29, v23, v25, 2
	;; [unrolled: 1-line block ×6, first 2 shown]
	s_barrier
	ds_read2_b32 v[20:21], v28 offset0:18 offset1:19
	ds_read_b32 v28, v29 offset:72
	ds_read_b32 v29, v30 offset:720
	;; [unrolled: 1-line block ×5, first 2 shown]
	s_waitcnt lgkmcnt(4)
	v_add_u32_e32 v20, v28, v20
	s_load_dwordx2 s[0:1], s[4:5], 0x18
	s_waitcnt lgkmcnt(0)
	v_add3_u32 v20, v20, v29, v30
	s_waitcnt vmcnt(3)
	v_cvt_f32_i32_e32 v22, v24
	v_add3_u32 v20, v20, v31, v32
	v_cvt_f32_i32_e32 v20, v20
	v_cvt_f32_i32_e32 v28, v21
	s_mov_b32 s6, 0x3fb8aa3b
	v_mov_b32_e32 v24, 0xad2febff
	v_fmac_f32_e32 v20, s0, v22
	v_mul_f32_e32 v22, v20, v28
	v_mul_f32_e32 v22, s1, v22
	;; [unrolled: 1-line block ×3, first 2 shown]
	v_fma_f32 v30, v22, s6, -v29
	v_rndne_f32_e32 v31, v29
	v_fmac_f32_e32 v30, 0x32a5705f, v22
	v_sub_f32_e32 v29, v29, v31
	v_add_f32_e32 v29, v29, v30
	v_cvt_i32_f32_e32 v31, v31
	v_exp_f32_e32 v29, v29
	v_add_lshl_u32 v30, v23, v15, 2
	v_fma_f32 v20, v20, v28, v24
	s_mov_b32 s7, 0xc2ce8ed0
	v_ldexp_f32 v23, v29, v31
	s_mov_b32 s8, 0x42b17218
	v_cmp_ngt_f32_e32 vcc, s7, v22
	v_mov_b32_e32 v33, 0x7f800000
	v_cndmask_b32_e32 v23, 0, v23, vcc
	v_cmp_nlt_f32_e32 vcc, s8, v22
	s_mov_b32 s9, 0x2f800000
	v_sub_u32_e32 v32, 0, v21
	v_xor_b32_e32 v17, 1, v17
	s_waitcnt vmcnt(2)
	v_cvt_f32_i32_e32 v16, v16
	s_mov_b32 s4, 0x4c957f2d
	s_mov_b32 s5, 0x5851f42d
	s_waitcnt vmcnt(1)
	v_lshrrev_b32_e32 v28, 13, v11
	v_alignbit_b32 v29, v11, v10, 27
	v_lshrrev_b32_e32 v31, 27, v11
	v_xor_b32_e32 v28, v28, v29
	v_alignbit_b32 v28, v28, v28, v31
	v_cvt_f32_u32_e32 v28, v28
	v_cndmask_b32_e32 v29, v33, v23, vcc
	s_waitcnt vmcnt(0)
	v_mad_u64_u32 v[22:23], s[2:3], v10, s4, v[8:9]
	v_fma_f32 v28, v28, s9, -v29
	v_or_b32_e32 v20, v28, v20
	v_cmp_gt_i32_e32 vcc, 0, v20
	v_cndmask_b32_e32 v20, v21, v32, vcc
	ds_write_b32 v30, v20 offset:72
	v_mul_u32_u24_e32 v20, 18, v17
	v_mad_u32_u24 v21, v17, 18, 18
	v_mad_u32_u24 v17, v17, 18, v18
	v_add_lshl_u32 v14, v17, v14, 2
	v_add_lshl_u32 v25, v17, v25, 2
	;; [unrolled: 1-line block ×6, first 2 shown]
	s_waitcnt lgkmcnt(0)
	s_barrier
	ds_read2_b32 v[18:19], v14 offset0:18 offset1:19
	ds_read_b32 v14, v25 offset:72
	ds_read_b32 v25, v28 offset:720
	;; [unrolled: 1-line block ×5, first 2 shown]
	s_waitcnt lgkmcnt(4)
	v_add_u32_e32 v14, v14, v18
	v_cvt_f32_i32_e32 v18, v19
	s_waitcnt lgkmcnt(2)
	v_add3_u32 v14, v14, v25, v20
	v_mul_lo_u32 v10, v10, s5
	s_waitcnt lgkmcnt(0)
	v_add3_u32 v14, v14, v26, v21
	v_cvt_f32_i32_e32 v14, v14
	v_mul_lo_u32 v11, v11, s4
	v_add3_u32 v10, v11, v23, v10
	v_add_lshl_u32 v11, v17, v15, 2
	v_fmac_f32_e32 v14, s0, v16
	v_mul_f32_e32 v15, v14, v18
	v_fmac_f32_e32 v24, v14, v18
	v_lshrrev_b32_e32 v17, 13, v10
	v_alignbit_b32 v18, v10, v22, 27
	v_mul_f32_e32 v15, s1, v15
	v_xor_b32_e32 v17, v17, v18
	v_mul_f32_e32 v18, 0x3fb8aa3b, v15
	v_fma_f32 v20, v15, s6, -v18
	v_rndne_f32_e32 v21, v18
	v_fmac_f32_e32 v20, 0x32a5705f, v15
	v_sub_f32_e32 v18, v18, v21
	v_add_f32_e32 v18, v18, v20
	v_exp_f32_e32 v18, v18
	v_cvt_i32_f32_e32 v20, v21
	v_mul_lo_u32 v16, v10, s4
	v_lshrrev_b32_e32 v10, 27, v10
	v_alignbit_b32 v10, v17, v17, v10
	v_cvt_f32_u32_e32 v10, v10
	v_ldexp_f32 v17, v18, v20
	v_cmp_ngt_f32_e32 vcc, s7, v15
	v_cndmask_b32_e32 v17, 0, v17, vcc
	v_cmp_nlt_f32_e32 vcc, s8, v15
	v_cndmask_b32_e32 v15, v33, v17, vcc
	v_fma_f32 v10, v10, s9, -v15
	v_or_b32_e32 v10, v10, v24
	v_sub_u32_e32 v15, 0, v19
	v_cmp_gt_i32_e32 vcc, 0, v10
	v_cndmask_b32_e32 v10, v19, v15, vcc
	ds_write_b32 v11, v10 offset:72
	s_waitcnt lgkmcnt(0)
	s_barrier
	ds_read_b32 v12, v12 offset:720
	ds_read_b32 v13, v13 offset:720
	v_mul_lo_u32 v14, v22, s5
	v_mad_u64_u32 v[10:11], s[0:1], v22, s4, v[8:9]
	v_add3_u32 v11, v16, v11, v14
	s_waitcnt lgkmcnt(1)
	global_store_dword v[0:1], v12, off
	s_waitcnt lgkmcnt(0)
	global_store_dword v[2:3], v13, off
	global_store_dwordx2 v[4:5], v[10:11], off
	global_store_dwordx2 v[6:7], v[8:9], off
	s_endpgm
.LBB1_31:
	v_cmp_eq_u32_e32 vcc, 3, v21
                                        ; implicit-def: $vgpr8
                                        ; implicit-def: $vgpr7
	s_and_saveexec_b64 s[12:13], vcc
; %bb.32:
	s_add_i32 s14, s16, -8
	s_cmp_eq_u32 s18, s14
	v_add3_u32 v5, v5, s18, 8
	v_mul_lo_u32 v5, v5, s16
	s_cselect_b64 vcc, -1, 0
	s_movk_i32 s14, 0x156
	s_mov_b64 s[2:3], exec
	v_cndmask_b32_e32 v8, v5, v23, vcc
	v_add3_u32 v7, v15, v20, s14
; %bb.33:
	s_or_b64 exec, exec, s[12:13]
	s_and_b64 s[2:3], s[2:3], exec
                                        ; implicit-def: $vgpr5
	s_or_saveexec_b64 s[10:11], s[10:11]
	v_add_u32_e32 v18, 0xb4, v20
	s_xor_b64 exec, exec, s[10:11]
	s_cbranch_execz .LBB1_2
.LBB1_34:
	v_cmp_eq_u32_e32 vcc, 0, v21
	s_mov_b64 s[12:13], s[2:3]
                                        ; implicit-def: $vgpr8
                                        ; implicit-def: $vgpr7
	s_and_saveexec_b64 s[14:15], vcc
; %bb.35:
	s_cmp_eq_u32 s18, 0
	s_cselect_b32 s12, s16, s18
	v_add3_u32 v5, v5, s12, -1
	v_mul_lo_u32 v8, v5, s16
	v_add_u32_e32 v7, v18, v15
	s_or_b64 s[12:13], s[2:3], exec
; %bb.36:
	s_or_b64 exec, exec, s[14:15]
	s_andn2_b64 s[2:3], s[2:3], exec
	s_and_b64 s[12:13], s[12:13], exec
	s_or_b64 s[2:3], s[2:3], s[12:13]
	s_or_b64 exec, exec, s[10:11]
	s_and_saveexec_b64 s[10:11], s[2:3]
	s_cbranch_execnz .LBB1_3
	s_branch .LBB1_4
.LBB1_37:
	s_branch .LBB1_15
.LBB1_38:
	s_branch .LBB1_28
	.section	.rodata,"a",@progbits
	.p2align	6, 0x0
	.amdhsa_kernel _Z17kernel_metropolisiiPiPKiffPmS2_i
		.amdhsa_group_segment_fixed_size 4320
		.amdhsa_private_segment_fixed_size 0
		.amdhsa_kernarg_size 312
		.amdhsa_user_sgpr_count 6
		.amdhsa_user_sgpr_private_segment_buffer 1
		.amdhsa_user_sgpr_dispatch_ptr 0
		.amdhsa_user_sgpr_queue_ptr 0
		.amdhsa_user_sgpr_kernarg_segment_ptr 1
		.amdhsa_user_sgpr_dispatch_id 0
		.amdhsa_user_sgpr_flat_scratch_init 0
		.amdhsa_user_sgpr_kernarg_preload_length 0
		.amdhsa_user_sgpr_kernarg_preload_offset 0
		.amdhsa_user_sgpr_private_segment_size 0
		.amdhsa_uses_dynamic_stack 0
		.amdhsa_system_sgpr_private_segment_wavefront_offset 0
		.amdhsa_system_sgpr_workgroup_id_x 1
		.amdhsa_system_sgpr_workgroup_id_y 1
		.amdhsa_system_sgpr_workgroup_id_z 1
		.amdhsa_system_sgpr_workgroup_info 0
		.amdhsa_system_vgpr_workitem_id 2
		.amdhsa_next_free_vgpr 34
		.amdhsa_next_free_sgpr 19
		.amdhsa_accum_offset 36
		.amdhsa_reserve_vcc 1
		.amdhsa_reserve_flat_scratch 0
		.amdhsa_float_round_mode_32 0
		.amdhsa_float_round_mode_16_64 0
		.amdhsa_float_denorm_mode_32 3
		.amdhsa_float_denorm_mode_16_64 3
		.amdhsa_dx10_clamp 1
		.amdhsa_ieee_mode 1
		.amdhsa_fp16_overflow 0
		.amdhsa_tg_split 0
		.amdhsa_exception_fp_ieee_invalid_op 0
		.amdhsa_exception_fp_denorm_src 0
		.amdhsa_exception_fp_ieee_div_zero 0
		.amdhsa_exception_fp_ieee_overflow 0
		.amdhsa_exception_fp_ieee_underflow 0
		.amdhsa_exception_fp_ieee_inexact 0
		.amdhsa_exception_int_div_zero 0
	.end_amdhsa_kernel
	.text
.Lfunc_end1:
	.size	_Z17kernel_metropolisiiPiPKiffPmS2_i, .Lfunc_end1-_Z17kernel_metropolisiiPiPKiffPmS2_i
                                        ; -- End function
	.section	.AMDGPU.csdata,"",@progbits
; Kernel info:
; codeLenInByte = 2664
; NumSgprs: 23
; NumVgprs: 34
; NumAgprs: 0
; TotalNumVgprs: 34
; ScratchSize: 0
; MemoryBound: 0
; FloatMode: 240
; IeeeMode: 1
; LDSByteSize: 4320 bytes/workgroup (compile time only)
; SGPRBlocks: 2
; VGPRBlocks: 4
; NumSGPRsForWavesPerEU: 23
; NumVGPRsForWavesPerEU: 34
; AccumOffset: 36
; Occupancy: 8
; WaveLimiterHint : 0
; COMPUTE_PGM_RSRC2:SCRATCH_EN: 0
; COMPUTE_PGM_RSRC2:USER_SGPR: 6
; COMPUTE_PGM_RSRC2:TRAP_HANDLER: 0
; COMPUTE_PGM_RSRC2:TGID_X_EN: 1
; COMPUTE_PGM_RSRC2:TGID_Y_EN: 1
; COMPUTE_PGM_RSRC2:TGID_Z_EN: 1
; COMPUTE_PGM_RSRC2:TIDIG_COMP_CNT: 2
; COMPUTE_PGM_RSRC3_GFX90A:ACCUM_OFFSET: 8
; COMPUTE_PGM_RSRC3_GFX90A:TG_SPLIT: 0
	.text
	.protected	_Z26kernel_reset_random_gpupcgPiiPmS0_ ; -- Begin function _Z26kernel_reset_random_gpupcgPiiPmS0_
	.globl	_Z26kernel_reset_random_gpupcgPiiPmS0_
	.p2align	8
	.type	_Z26kernel_reset_random_gpupcgPiiPmS0_,@function
_Z26kernel_reset_random_gpupcgPiiPmS0_: ; @_Z26kernel_reset_random_gpupcgPiiPmS0_
; %bb.0:
	s_load_dword s0, s[4:5], 0x2c
	s_load_dword s7, s[4:5], 0x8
	s_waitcnt lgkmcnt(0)
	s_and_b32 s0, s0, 0xffff
	s_ashr_i32 s1, s7, 31
	s_mul_i32 s6, s6, s0
	s_lshr_b32 s0, s1, 30
	s_add_i32 s0, s7, s0
	v_add_u32_e32 v6, s6, v0
	s_ashr_i32 s0, s0, 2
	v_cmp_gt_i32_e32 vcc, s0, v6
	s_and_saveexec_b64 s[2:3], vcc
	s_cbranch_execz .LBB2_2
; %bb.1:
	s_load_dwordx4 s[8:11], s[4:5], 0x10
	s_load_dwordx2 s[2:3], s[4:5], 0x0
	v_ashrrev_i32_e32 v7, 31, v6
	v_lshlrev_b64 v[2:3], 3, v[6:7]
	s_ashr_i32 s1, s0, 31
	s_waitcnt lgkmcnt(0)
	v_mov_b32_e32 v1, s9
	v_add_co_u32_e32 v0, vcc, s8, v2
	v_addc_co_u32_e32 v1, vcc, v1, v3, vcc
	v_mov_b32_e32 v4, s11
	v_add_co_u32_e32 v2, vcc, s10, v2
	v_addc_co_u32_e32 v3, vcc, v4, v3, vcc
	global_load_dwordx2 v[8:9], v[0:1], off
	global_load_dwordx2 v[4:5], v[2:3], off
	s_mul_i32 s10, s7, 3
	v_lshlrev_b64 v[6:7], 2, v[6:7]
	s_lshl_b64 s[0:1], s[0:1], 2
	s_ashr_i32 s5, s10, 31
	v_mov_b32_e32 v10, s3
	v_add_co_u32_e32 v6, vcc, s2, v6
	s_mov_b32 s6, 0x4c957f2d
	s_mov_b32 s8, 0x5851f42d
	v_mov_b32_e32 v11, s1
	s_lshr_b32 s1, s5, 30
	v_addc_co_u32_e32 v7, vcc, v10, v7, vcc
	s_add_i32 s10, s10, s1
	v_add_co_u32_e32 v10, vcc, s0, v6
	s_mov_b32 s9, 0x2f800000
	s_lshr_b32 s4, s7, 31
	s_add_i32 s7, s7, s4
	s_ashr_i32 s4, s7, 1
	s_ashr_i32 s5, s4, 31
	s_lshl_b64 s[4:5], s[4:5], 2
	v_addc_co_u32_e32 v11, vcc, v7, v11, vcc
	v_mov_b32_e32 v13, s5
	v_add_co_u32_e32 v12, vcc, s4, v6
	v_addc_co_u32_e32 v13, vcc, v7, v13, vcc
	s_waitcnt vmcnt(1)
	v_mul_lo_u32 v16, v8, s8
	s_waitcnt vmcnt(0)
	v_mad_u64_u32 v[14:15], s[0:1], v8, s6, v[4:5]
	v_mul_lo_u32 v17, v9, s6
	v_lshrrev_b32_e32 v18, 13, v9
	v_alignbit_b32 v8, v9, v8, 27
	v_lshrrev_b32_e32 v19, 27, v9
	v_add3_u32 v15, v17, v15, v16
	v_xor_b32_e32 v16, v18, v8
	v_mul_lo_u32 v17, v14, s8
	v_mad_u64_u32 v[8:9], s[0:1], v14, s6, v[4:5]
	v_alignbit_b32 v16, v16, v16, v19
	v_mul_lo_u32 v18, v15, s6
	v_lshrrev_b32_e32 v19, 13, v15
	v_alignbit_b32 v20, v15, v14, 27
	v_lshrrev_b32_e32 v21, 27, v15
	v_add3_u32 v9, v18, v9, v17
	v_xor_b32_e32 v18, v19, v20
	v_mul_lo_u32 v22, v8, s8
	v_mad_u64_u32 v[14:15], s[0:1], v8, s6, v[4:5]
	v_alignbit_b32 v18, v18, v18, v21
	v_mul_lo_u32 v20, v9, s6
	v_lshrrev_b32_e32 v21, 13, v9
	v_alignbit_b32 v8, v9, v8, 27
	v_lshrrev_b32_e32 v9, 27, v9
	v_add3_u32 v15, v20, v15, v22
	v_xor_b32_e32 v8, v21, v8
	v_cvt_f32_u32_e32 v23, v16
	v_mul_lo_u32 v19, v14, s8
	v_mad_u64_u32 v[16:17], s[0:1], v14, s6, v[4:5]
	v_alignbit_b32 v8, v8, v8, v9
	v_mul_lo_u32 v9, v15, s6
	v_lshrrev_b32_e32 v20, 13, v15
	v_alignbit_b32 v14, v15, v14, 27
	v_cvt_f32_u32_e32 v18, v18
	v_lshrrev_b32_e32 v15, 27, v15
	v_cvt_f32_u32_e32 v8, v8
	v_add3_u32 v17, v9, v17, v19
	v_xor_b32_e32 v9, v20, v14
	v_alignbit_b32 v9, v9, v9, v15
	v_cvt_f32_u32_e32 v9, v9
	v_fma_f32 v21, v23, s9, 0.5
	v_fma_f32 v15, v18, s9, 0.5
	;; [unrolled: 1-line block ×3, first 2 shown]
	v_cvt_i32_f32_e32 v14, v21
	v_cvt_i32_f32_e32 v15, v15
	;; [unrolled: 1-line block ×3, first 2 shown]
	v_fma_f32 v9, v9, s9, 0.5
	v_cvt_i32_f32_e32 v9, v9
	v_cvt_f32_i32_e32 v14, v14
	v_cvt_f32_i32_e32 v15, v15
	;; [unrolled: 1-line block ×4, first 2 shown]
	v_fma_f32 v14, v14, -2.0, 1.0
	v_fma_f32 v15, v15, -2.0, 1.0
	;; [unrolled: 1-line block ×3, first 2 shown]
	v_cvt_i32_f32_e32 v14, v14
	v_cvt_i32_f32_e32 v15, v15
	;; [unrolled: 1-line block ×3, first 2 shown]
	v_fma_f32 v9, v9, -2.0, 1.0
	s_ashr_i32 s0, s10, 2
	v_cvt_i32_f32_e32 v9, v9
	s_ashr_i32 s1, s0, 31
	s_lshl_b64 s[0:1], s[0:1], 2
	global_store_dword v[6:7], v14, off
	global_store_dword v[10:11], v15, off
	;; [unrolled: 1-line block ×3, first 2 shown]
	v_mov_b32_e32 v8, s1
	v_add_co_u32_e32 v6, vcc, s0, v6
	v_addc_co_u32_e32 v7, vcc, v7, v8, vcc
	global_store_dword v[6:7], v9, off
	global_store_dwordx2 v[0:1], v[16:17], off
	global_store_dwordx2 v[2:3], v[4:5], off
.LBB2_2:
	s_endpgm
	.section	.rodata,"a",@progbits
	.p2align	6, 0x0
	.amdhsa_kernel _Z26kernel_reset_random_gpupcgPiiPmS0_
		.amdhsa_group_segment_fixed_size 0
		.amdhsa_private_segment_fixed_size 0
		.amdhsa_kernarg_size 288
		.amdhsa_user_sgpr_count 6
		.amdhsa_user_sgpr_private_segment_buffer 1
		.amdhsa_user_sgpr_dispatch_ptr 0
		.amdhsa_user_sgpr_queue_ptr 0
		.amdhsa_user_sgpr_kernarg_segment_ptr 1
		.amdhsa_user_sgpr_dispatch_id 0
		.amdhsa_user_sgpr_flat_scratch_init 0
		.amdhsa_user_sgpr_kernarg_preload_length 0
		.amdhsa_user_sgpr_kernarg_preload_offset 0
		.amdhsa_user_sgpr_private_segment_size 0
		.amdhsa_uses_dynamic_stack 0
		.amdhsa_system_sgpr_private_segment_wavefront_offset 0
		.amdhsa_system_sgpr_workgroup_id_x 1
		.amdhsa_system_sgpr_workgroup_id_y 0
		.amdhsa_system_sgpr_workgroup_id_z 0
		.amdhsa_system_sgpr_workgroup_info 0
		.amdhsa_system_vgpr_workitem_id 0
		.amdhsa_next_free_vgpr 24
		.amdhsa_next_free_sgpr 12
		.amdhsa_accum_offset 24
		.amdhsa_reserve_vcc 1
		.amdhsa_reserve_flat_scratch 0
		.amdhsa_float_round_mode_32 0
		.amdhsa_float_round_mode_16_64 0
		.amdhsa_float_denorm_mode_32 3
		.amdhsa_float_denorm_mode_16_64 3
		.amdhsa_dx10_clamp 1
		.amdhsa_ieee_mode 1
		.amdhsa_fp16_overflow 0
		.amdhsa_tg_split 0
		.amdhsa_exception_fp_ieee_invalid_op 0
		.amdhsa_exception_fp_denorm_src 0
		.amdhsa_exception_fp_ieee_div_zero 0
		.amdhsa_exception_fp_ieee_overflow 0
		.amdhsa_exception_fp_ieee_underflow 0
		.amdhsa_exception_fp_ieee_inexact 0
		.amdhsa_exception_int_div_zero 0
	.end_amdhsa_kernel
	.text
.Lfunc_end2:
	.size	_Z26kernel_reset_random_gpupcgPiiPmS0_, .Lfunc_end2-_Z26kernel_reset_random_gpupcgPiiPmS0_
                                        ; -- End function
	.section	.AMDGPU.csdata,"",@progbits
; Kernel info:
; codeLenInByte = 700
; NumSgprs: 16
; NumVgprs: 24
; NumAgprs: 0
; TotalNumVgprs: 24
; ScratchSize: 0
; MemoryBound: 0
; FloatMode: 240
; IeeeMode: 1
; LDSByteSize: 0 bytes/workgroup (compile time only)
; SGPRBlocks: 1
; VGPRBlocks: 2
; NumSGPRsForWavesPerEU: 16
; NumVGPRsForWavesPerEU: 24
; AccumOffset: 24
; Occupancy: 8
; WaveLimiterHint : 0
; COMPUTE_PGM_RSRC2:SCRATCH_EN: 0
; COMPUTE_PGM_RSRC2:USER_SGPR: 6
; COMPUTE_PGM_RSRC2:TRAP_HANDLER: 0
; COMPUTE_PGM_RSRC2:TGID_X_EN: 1
; COMPUTE_PGM_RSRC2:TGID_Y_EN: 0
; COMPUTE_PGM_RSRC2:TGID_Z_EN: 0
; COMPUTE_PGM_RSRC2:TIDIG_COMP_CNT: 0
; COMPUTE_PGM_RSRC3_GFX90A:ACCUM_OFFSET: 5
; COMPUTE_PGM_RSRC3_GFX90A:TG_SPLIT: 0
	.section	.text._Z12kernel_resetIiEvPT_iS0_,"axG",@progbits,_Z12kernel_resetIiEvPT_iS0_,comdat
	.protected	_Z12kernel_resetIiEvPT_iS0_ ; -- Begin function _Z12kernel_resetIiEvPT_iS0_
	.globl	_Z12kernel_resetIiEvPT_iS0_
	.p2align	8
	.type	_Z12kernel_resetIiEvPT_iS0_,@function
_Z12kernel_resetIiEvPT_iS0_:            ; @_Z12kernel_resetIiEvPT_iS0_
; %bb.0:
	s_load_dword s2, s[4:5], 0x1c
	s_load_dwordx2 s[0:1], s[4:5], 0x8
	s_waitcnt lgkmcnt(0)
	s_and_b32 s2, s2, 0xffff
	s_mul_i32 s6, s6, s2
	v_add_u32_e32 v0, s6, v0
	v_cmp_gt_i32_e32 vcc, s0, v0
	s_and_saveexec_b64 s[2:3], vcc
	s_cbranch_execz .LBB3_2
; %bb.1:
	s_load_dwordx2 s[2:3], s[4:5], 0x0
	v_ashrrev_i32_e32 v1, 31, v0
	v_lshlrev_b64 v[0:1], 2, v[0:1]
	s_waitcnt lgkmcnt(0)
	v_mov_b32_e32 v2, s3
	v_add_co_u32_e32 v0, vcc, s2, v0
	v_addc_co_u32_e32 v1, vcc, v2, v1, vcc
	v_mov_b32_e32 v2, s1
	global_store_dword v[0:1], v2, off
.LBB3_2:
	s_endpgm
	.section	.rodata,"a",@progbits
	.p2align	6, 0x0
	.amdhsa_kernel _Z12kernel_resetIiEvPT_iS0_
		.amdhsa_group_segment_fixed_size 0
		.amdhsa_private_segment_fixed_size 0
		.amdhsa_kernarg_size 272
		.amdhsa_user_sgpr_count 6
		.amdhsa_user_sgpr_private_segment_buffer 1
		.amdhsa_user_sgpr_dispatch_ptr 0
		.amdhsa_user_sgpr_queue_ptr 0
		.amdhsa_user_sgpr_kernarg_segment_ptr 1
		.amdhsa_user_sgpr_dispatch_id 0
		.amdhsa_user_sgpr_flat_scratch_init 0
		.amdhsa_user_sgpr_kernarg_preload_length 0
		.amdhsa_user_sgpr_kernarg_preload_offset 0
		.amdhsa_user_sgpr_private_segment_size 0
		.amdhsa_uses_dynamic_stack 0
		.amdhsa_system_sgpr_private_segment_wavefront_offset 0
		.amdhsa_system_sgpr_workgroup_id_x 1
		.amdhsa_system_sgpr_workgroup_id_y 0
		.amdhsa_system_sgpr_workgroup_id_z 0
		.amdhsa_system_sgpr_workgroup_info 0
		.amdhsa_system_vgpr_workitem_id 0
		.amdhsa_next_free_vgpr 3
		.amdhsa_next_free_sgpr 7
		.amdhsa_accum_offset 4
		.amdhsa_reserve_vcc 1
		.amdhsa_reserve_flat_scratch 0
		.amdhsa_float_round_mode_32 0
		.amdhsa_float_round_mode_16_64 0
		.amdhsa_float_denorm_mode_32 3
		.amdhsa_float_denorm_mode_16_64 3
		.amdhsa_dx10_clamp 1
		.amdhsa_ieee_mode 1
		.amdhsa_fp16_overflow 0
		.amdhsa_tg_split 0
		.amdhsa_exception_fp_ieee_invalid_op 0
		.amdhsa_exception_fp_denorm_src 0
		.amdhsa_exception_fp_ieee_div_zero 0
		.amdhsa_exception_fp_ieee_overflow 0
		.amdhsa_exception_fp_ieee_underflow 0
		.amdhsa_exception_fp_ieee_inexact 0
		.amdhsa_exception_int_div_zero 0
	.end_amdhsa_kernel
	.section	.text._Z12kernel_resetIiEvPT_iS0_,"axG",@progbits,_Z12kernel_resetIiEvPT_iS0_,comdat
.Lfunc_end3:
	.size	_Z12kernel_resetIiEvPT_iS0_, .Lfunc_end3-_Z12kernel_resetIiEvPT_iS0_
                                        ; -- End function
	.section	.AMDGPU.csdata,"",@progbits
; Kernel info:
; codeLenInByte = 100
; NumSgprs: 11
; NumVgprs: 3
; NumAgprs: 0
; TotalNumVgprs: 3
; ScratchSize: 0
; MemoryBound: 0
; FloatMode: 240
; IeeeMode: 1
; LDSByteSize: 0 bytes/workgroup (compile time only)
; SGPRBlocks: 1
; VGPRBlocks: 0
; NumSGPRsForWavesPerEU: 11
; NumVGPRsForWavesPerEU: 3
; AccumOffset: 4
; Occupancy: 8
; WaveLimiterHint : 0
; COMPUTE_PGM_RSRC2:SCRATCH_EN: 0
; COMPUTE_PGM_RSRC2:USER_SGPR: 6
; COMPUTE_PGM_RSRC2:TRAP_HANDLER: 0
; COMPUTE_PGM_RSRC2:TGID_X_EN: 1
; COMPUTE_PGM_RSRC2:TGID_Y_EN: 0
; COMPUTE_PGM_RSRC2:TGID_Z_EN: 0
; COMPUTE_PGM_RSRC2:TIDIG_COMP_CNT: 0
; COMPUTE_PGM_RSRC3_GFX90A:ACCUM_OFFSET: 0
; COMPUTE_PGM_RSRC3_GFX90A:TG_SPLIT: 0
	.section	.text._Z12kernel_resetIfEvPT_iS0_,"axG",@progbits,_Z12kernel_resetIfEvPT_iS0_,comdat
	.protected	_Z12kernel_resetIfEvPT_iS0_ ; -- Begin function _Z12kernel_resetIfEvPT_iS0_
	.globl	_Z12kernel_resetIfEvPT_iS0_
	.p2align	8
	.type	_Z12kernel_resetIfEvPT_iS0_,@function
_Z12kernel_resetIfEvPT_iS0_:            ; @_Z12kernel_resetIfEvPT_iS0_
; %bb.0:
	s_load_dword s2, s[4:5], 0x1c
	s_load_dwordx2 s[0:1], s[4:5], 0x8
	s_waitcnt lgkmcnt(0)
	s_and_b32 s2, s2, 0xffff
	s_mul_i32 s6, s6, s2
	v_add_u32_e32 v0, s6, v0
	v_cmp_gt_i32_e32 vcc, s0, v0
	s_and_saveexec_b64 s[2:3], vcc
	s_cbranch_execz .LBB4_2
; %bb.1:
	s_load_dwordx2 s[2:3], s[4:5], 0x0
	v_ashrrev_i32_e32 v1, 31, v0
	v_lshlrev_b64 v[0:1], 2, v[0:1]
	s_waitcnt lgkmcnt(0)
	v_mov_b32_e32 v2, s3
	v_add_co_u32_e32 v0, vcc, s2, v0
	v_addc_co_u32_e32 v1, vcc, v2, v1, vcc
	v_mov_b32_e32 v2, s1
	global_store_dword v[0:1], v2, off
.LBB4_2:
	s_endpgm
	.section	.rodata,"a",@progbits
	.p2align	6, 0x0
	.amdhsa_kernel _Z12kernel_resetIfEvPT_iS0_
		.amdhsa_group_segment_fixed_size 0
		.amdhsa_private_segment_fixed_size 0
		.amdhsa_kernarg_size 272
		.amdhsa_user_sgpr_count 6
		.amdhsa_user_sgpr_private_segment_buffer 1
		.amdhsa_user_sgpr_dispatch_ptr 0
		.amdhsa_user_sgpr_queue_ptr 0
		.amdhsa_user_sgpr_kernarg_segment_ptr 1
		.amdhsa_user_sgpr_dispatch_id 0
		.amdhsa_user_sgpr_flat_scratch_init 0
		.amdhsa_user_sgpr_kernarg_preload_length 0
		.amdhsa_user_sgpr_kernarg_preload_offset 0
		.amdhsa_user_sgpr_private_segment_size 0
		.amdhsa_uses_dynamic_stack 0
		.amdhsa_system_sgpr_private_segment_wavefront_offset 0
		.amdhsa_system_sgpr_workgroup_id_x 1
		.amdhsa_system_sgpr_workgroup_id_y 0
		.amdhsa_system_sgpr_workgroup_id_z 0
		.amdhsa_system_sgpr_workgroup_info 0
		.amdhsa_system_vgpr_workitem_id 0
		.amdhsa_next_free_vgpr 3
		.amdhsa_next_free_sgpr 7
		.amdhsa_accum_offset 4
		.amdhsa_reserve_vcc 1
		.amdhsa_reserve_flat_scratch 0
		.amdhsa_float_round_mode_32 0
		.amdhsa_float_round_mode_16_64 0
		.amdhsa_float_denorm_mode_32 3
		.amdhsa_float_denorm_mode_16_64 3
		.amdhsa_dx10_clamp 1
		.amdhsa_ieee_mode 1
		.amdhsa_fp16_overflow 0
		.amdhsa_tg_split 0
		.amdhsa_exception_fp_ieee_invalid_op 0
		.amdhsa_exception_fp_denorm_src 0
		.amdhsa_exception_fp_ieee_div_zero 0
		.amdhsa_exception_fp_ieee_overflow 0
		.amdhsa_exception_fp_ieee_underflow 0
		.amdhsa_exception_fp_ieee_inexact 0
		.amdhsa_exception_int_div_zero 0
	.end_amdhsa_kernel
	.section	.text._Z12kernel_resetIfEvPT_iS0_,"axG",@progbits,_Z12kernel_resetIfEvPT_iS0_,comdat
.Lfunc_end4:
	.size	_Z12kernel_resetIfEvPT_iS0_, .Lfunc_end4-_Z12kernel_resetIfEvPT_iS0_
                                        ; -- End function
	.section	.AMDGPU.csdata,"",@progbits
; Kernel info:
; codeLenInByte = 100
; NumSgprs: 11
; NumVgprs: 3
; NumAgprs: 0
; TotalNumVgprs: 3
; ScratchSize: 0
; MemoryBound: 0
; FloatMode: 240
; IeeeMode: 1
; LDSByteSize: 0 bytes/workgroup (compile time only)
; SGPRBlocks: 1
; VGPRBlocks: 0
; NumSGPRsForWavesPerEU: 11
; NumVGPRsForWavesPerEU: 3
; AccumOffset: 4
; Occupancy: 8
; WaveLimiterHint : 0
; COMPUTE_PGM_RSRC2:SCRATCH_EN: 0
; COMPUTE_PGM_RSRC2:USER_SGPR: 6
; COMPUTE_PGM_RSRC2:TRAP_HANDLER: 0
; COMPUTE_PGM_RSRC2:TGID_X_EN: 1
; COMPUTE_PGM_RSRC2:TGID_Y_EN: 0
; COMPUTE_PGM_RSRC2:TGID_Z_EN: 0
; COMPUTE_PGM_RSRC2:TIDIG_COMP_CNT: 0
; COMPUTE_PGM_RSRC3_GFX90A:ACCUM_OFFSET: 0
; COMPUTE_PGM_RSRC3_GFX90A:TG_SPLIT: 0
	.section	.text._Z16kernel_redenergyIfEvPKiiPT_S1_f,"axG",@progbits,_Z16kernel_redenergyIfEvPKiiPT_S1_f,comdat
	.protected	_Z16kernel_redenergyIfEvPKiiPT_S1_f ; -- Begin function _Z16kernel_redenergyIfEvPKiiPT_S1_f
	.globl	_Z16kernel_redenergyIfEvPKiiPT_S1_f
	.p2align	8
	.type	_Z16kernel_redenergyIfEvPKiiPT_S1_f,@function
_Z16kernel_redenergyIfEvPKiiPT_S1_f:    ; @_Z16kernel_redenergyIfEvPKiiPT_S1_f
; %bb.0:
	s_load_dwordx2 s[10:11], s[4:5], 0x34
	s_load_dwordx2 s[12:13], s[4:5], 0x0
	s_load_dword s14, s[4:5], 0x8
	s_load_dwordx4 s[0:3], s[4:5], 0x10
	s_load_dword s15, s[4:5], 0x20
	s_waitcnt lgkmcnt(0)
	s_and_b32 s4, s11, 0xffff
	s_and_b32 s9, s10, 0xffff
	s_lshr_b32 s5, s10, 16
	s_mul_i32 s6, s6, s9
	v_and_b32_e32 v1, 0x3ff, v0
	v_bfe_u32 v12, v0, 10, 10
	s_mul_i32 s8, s8, s4
	v_bfe_u32 v0, v0, 20, 10
	v_add_u32_e32 v2, s6, v1
	s_mul_i32 s7, s7, s5
	v_add_u32_e32 v3, s8, v0
	v_add_u32_e32 v4, s7, v12
	v_mul_lo_u32 v5, v3, s14
	v_add_u32_e32 v9, 1, v2
	v_add_u32_e32 v6, v5, v4
	v_cmp_gt_i32_e32 vcc, s14, v9
	v_mul_lo_u32 v8, v6, s14
	v_cndmask_b32_e32 v9, 0, v9, vcc
	v_add_u32_e32 v6, v8, v2
	v_add_u32_e32 v8, v8, v9
	v_ashrrev_i32_e32 v9, 31, v8
	v_lshlrev_b64 v[8:9], 2, v[8:9]
	v_mov_b32_e32 v13, s13
	v_add_co_u32_e32 v8, vcc, s12, v8
	v_addc_co_u32_e32 v9, vcc, v13, v9, vcc
	v_add_u32_e32 v10, 1, v4
	v_cmp_gt_i32_e32 vcc, s14, v10
	v_cndmask_b32_e32 v10, 0, v10, vcc
	v_add_u32_e32 v5, v10, v5
	v_mad_u64_u32 v[10:11], s[6:7], v5, s14, v[2:3]
	v_ashrrev_i32_e32 v11, 31, v10
	v_lshlrev_b64 v[10:11], 2, v[10:11]
	v_add_co_u32_e32 v10, vcc, s12, v10
	v_addc_co_u32_e32 v11, vcc, v13, v11, vcc
	v_add_u32_e32 v3, 1, v3
	v_cmp_gt_i32_e32 vcc, s14, v3
	v_cndmask_b32_e32 v3, 0, v3, vcc
	v_mad_u64_u32 v[4:5], s[6:7], v3, s14, v[4:5]
	v_mad_u64_u32 v[2:3], s[6:7], v4, s14, v[2:3]
	v_ashrrev_i32_e32 v3, 31, v2
	v_lshlrev_b64 v[2:3], 2, v[2:3]
	v_ashrrev_i32_e32 v7, 31, v6
	v_add_co_u32_e32 v2, vcc, s12, v2
	v_lshlrev_b64 v[6:7], 2, v[6:7]
	v_addc_co_u32_e32 v3, vcc, v13, v3, vcc
	global_load_dword v4, v[8:9], off
	global_load_dword v5, v[10:11], off
	;; [unrolled: 1-line block ×3, first 2 shown]
	v_mov_b32_e32 v3, s3
	v_add_co_u32_e32 v2, vcc, s2, v6
	v_addc_co_u32_e32 v3, vcc, v3, v7, vcc
	global_load_dword v8, v[2:3], off
	v_add_co_u32_e32 v2, vcc, s12, v6
	v_addc_co_u32_e32 v3, vcc, v13, v7, vcc
	global_load_dword v2, v[2:3], off
	v_mbcnt_lo_u32_b32 v3, -1, 0
	v_mbcnt_hi_u32_b32 v7, -1, v3
	v_and_b32_e32 v9, 63, v7
	v_cmp_gt_u32_e32 vcc, 48, v9
	v_cndmask_b32_e64 v3, 0, 1, vcc
	v_cmp_gt_u32_e32 vcc, 56, v9
	v_lshlrev_b32_e32 v0, 7, v0
	s_waitcnt vmcnt(2)
	v_add3_u32 v4, v5, v4, v14
	v_cvt_f32_i32_e32 v4, v4
	s_waitcnt vmcnt(1)
	v_cvt_f32_i32_e32 v5, v8
	v_fmac_f32_e32 v4, s15, v5
	s_waitcnt vmcnt(0)
	v_cvt_f32_i32_e32 v6, v2
	v_lshlrev_b32_e32 v2, 4, v3
	v_add_lshl_u32 v2, v2, v7, 2
	v_mul_f32_e64 v3, v6, -v4
	ds_bpermute_b32 v5, v2, v3
	v_cndmask_b32_e64 v3, 0, 1, vcc
	v_lshlrev_b32_e32 v3, 3, v3
	v_add_lshl_u32 v3, v3, v7, 2
	v_cmp_gt_u32_e32 vcc, 60, v9
	s_waitcnt lgkmcnt(0)
	v_fma_f32 v4, v6, -v4, v5
	ds_bpermute_b32 v6, v3, v4
	v_cndmask_b32_e64 v5, 0, 1, vcc
	v_lshlrev_b32_e32 v5, 2, v5
	v_add_lshl_u32 v5, v5, v7, 2
	v_cmp_gt_u32_e32 vcc, 62, v9
	s_waitcnt lgkmcnt(0)
	v_add_f32_e32 v4, v4, v6
	ds_bpermute_b32 v8, v5, v4
	v_cndmask_b32_e64 v6, 0, 1, vcc
	v_lshlrev_b32_e32 v6, 1, v6
	v_add_lshl_u32 v6, v6, v7, 2
	v_cmp_ne_u32_e32 vcc, 63, v9
	s_waitcnt lgkmcnt(0)
	v_add_f32_e32 v8, v4, v8
	ds_bpermute_b32 v10, v6, v8
	v_addc_co_u32_e32 v9, vcc, 0, v7, vcc
	v_lshlrev_b32_e32 v4, 4, v12
	s_waitcnt lgkmcnt(0)
	v_add_f32_e32 v7, v8, v10
	v_lshlrev_b32_e32 v8, 2, v9
	ds_bpermute_b32 v11, v8, v7
	v_add_u32_e32 v10, v4, v1
	v_add_u32_e32 v9, v10, v0
	v_and_b32_e32 v10, 31, v10
	v_cmp_eq_u32_e32 vcc, 0, v10
	s_and_saveexec_b64 s[2:3], vcc
	s_cbranch_execz .LBB5_2
; %bb.1:
	s_waitcnt lgkmcnt(0)
	v_add_f32_e32 v7, v7, v11
	v_lshrrev_b32_e32 v11, 3, v9
	ds_write_b32 v11, v7
.LBB5_2:
	s_or_b64 exec, exec, s[2:3]
	s_mul_i32 s2, s5, s9
	s_mul_i32 s2, s2, s4
	s_lshr_b32 s2, s2, 5
	v_cmp_gt_u32_e32 vcc, s2, v9
	v_mov_b32_e32 v7, 0
	s_waitcnt lgkmcnt(0)
	s_barrier
	s_and_saveexec_b64 s[2:3], vcc
	s_cbranch_execz .LBB5_4
; %bb.3:
	v_lshlrev_b32_e32 v7, 2, v10
	ds_read_b32 v7, v7
.LBB5_4:
	s_or_b64 exec, exec, s[2:3]
	v_cmp_gt_u32_e32 vcc, 32, v9
	s_and_saveexec_b64 s[2:3], vcc
	s_cbranch_execz .LBB5_6
; %bb.5:
	s_waitcnt lgkmcnt(0)
	ds_bpermute_b32 v2, v2, v7
	s_waitcnt lgkmcnt(0)
	v_add_f32_e32 v2, v7, v2
	ds_bpermute_b32 v3, v3, v2
	s_waitcnt lgkmcnt(0)
	v_add_f32_e32 v2, v2, v3
	;; [unrolled: 3-line block ×5, first 2 shown]
.LBB5_6:
	s_or_b64 exec, exec, s[2:3]
	v_add_u32_e32 v0, v0, v4
	v_or_b32_e32 v0, v0, v1
	v_cmp_eq_u32_e32 vcc, 0, v0
	s_and_saveexec_b64 s[2:3], vcc
	s_cbranch_execz .LBB5_12
; %bb.7:
	s_mov_b64 s[2:3], exec
	v_bfrev_b32_e32 v2, 1
.LBB5_8:                                ; =>This Inner Loop Header: Depth=1
	s_ff1_i32_b64 s4, s[2:3]
	s_waitcnt lgkmcnt(0)
	v_readlane_b32 s6, v7, s4
	s_lshl_b64 s[4:5], 1, s4
	s_andn2_b64 s[2:3], s[2:3], s[4:5]
	s_cmp_lg_u64 s[2:3], 0
	v_add_f32_e32 v2, s6, v2
	s_cbranch_scc1 .LBB5_8
; %bb.9:
	v_mbcnt_lo_u32_b32 v0, exec_lo, 0
	v_mbcnt_hi_u32_b32 v0, exec_hi, v0
	v_cmp_eq_u32_e32 vcc, 0, v0
	s_and_saveexec_b64 s[2:3], vcc
	s_xor_b64 s[2:3], exec, s[2:3]
	s_cbranch_execz .LBB5_12
; %bb.10:
	s_load_dword s4, s[0:1], 0x0
	s_mov_b64 s[2:3], 0
	v_mov_b32_e32 v3, 0
	s_waitcnt lgkmcnt(0)
	v_mov_b32_e32 v1, s4
.LBB5_11:                               ; =>This Inner Loop Header: Depth=1
	v_add_f32_e32 v0, v1, v2
	global_atomic_cmpswap v0, v3, v[0:1], s[0:1] glc
	s_waitcnt vmcnt(0)
	v_cmp_eq_u32_e32 vcc, v0, v1
	s_or_b64 s[2:3], vcc, s[2:3]
	v_mov_b32_e32 v1, v0
	s_andn2_b64 exec, exec, s[2:3]
	s_cbranch_execnz .LBB5_11
.LBB5_12:
	s_endpgm
	.section	.rodata,"a",@progbits
	.p2align	6, 0x0
	.amdhsa_kernel _Z16kernel_redenergyIfEvPKiiPT_S1_f
		.amdhsa_group_segment_fixed_size 128
		.amdhsa_private_segment_fixed_size 0
		.amdhsa_kernarg_size 296
		.amdhsa_user_sgpr_count 6
		.amdhsa_user_sgpr_private_segment_buffer 1
		.amdhsa_user_sgpr_dispatch_ptr 0
		.amdhsa_user_sgpr_queue_ptr 0
		.amdhsa_user_sgpr_kernarg_segment_ptr 1
		.amdhsa_user_sgpr_dispatch_id 0
		.amdhsa_user_sgpr_flat_scratch_init 0
		.amdhsa_user_sgpr_kernarg_preload_length 0
		.amdhsa_user_sgpr_kernarg_preload_offset 0
		.amdhsa_user_sgpr_private_segment_size 0
		.amdhsa_uses_dynamic_stack 0
		.amdhsa_system_sgpr_private_segment_wavefront_offset 0
		.amdhsa_system_sgpr_workgroup_id_x 1
		.amdhsa_system_sgpr_workgroup_id_y 1
		.amdhsa_system_sgpr_workgroup_id_z 1
		.amdhsa_system_sgpr_workgroup_info 0
		.amdhsa_system_vgpr_workitem_id 2
		.amdhsa_next_free_vgpr 15
		.amdhsa_next_free_sgpr 16
		.amdhsa_accum_offset 16
		.amdhsa_reserve_vcc 1
		.amdhsa_reserve_flat_scratch 0
		.amdhsa_float_round_mode_32 0
		.amdhsa_float_round_mode_16_64 0
		.amdhsa_float_denorm_mode_32 3
		.amdhsa_float_denorm_mode_16_64 3
		.amdhsa_dx10_clamp 1
		.amdhsa_ieee_mode 1
		.amdhsa_fp16_overflow 0
		.amdhsa_tg_split 0
		.amdhsa_exception_fp_ieee_invalid_op 0
		.amdhsa_exception_fp_denorm_src 0
		.amdhsa_exception_fp_ieee_div_zero 0
		.amdhsa_exception_fp_ieee_overflow 0
		.amdhsa_exception_fp_ieee_underflow 0
		.amdhsa_exception_fp_ieee_inexact 0
		.amdhsa_exception_int_div_zero 0
	.end_amdhsa_kernel
	.section	.text._Z16kernel_redenergyIfEvPKiiPT_S1_f,"axG",@progbits,_Z16kernel_redenergyIfEvPKiiPT_S1_f,comdat
.Lfunc_end5:
	.size	_Z16kernel_redenergyIfEvPKiiPT_S1_f, .Lfunc_end5-_Z16kernel_redenergyIfEvPKiiPT_S1_f
                                        ; -- End function
	.section	.AMDGPU.csdata,"",@progbits
; Kernel info:
; codeLenInByte = 956
; NumSgprs: 20
; NumVgprs: 15
; NumAgprs: 0
; TotalNumVgprs: 15
; ScratchSize: 0
; MemoryBound: 0
; FloatMode: 240
; IeeeMode: 1
; LDSByteSize: 128 bytes/workgroup (compile time only)
; SGPRBlocks: 2
; VGPRBlocks: 1
; NumSGPRsForWavesPerEU: 20
; NumVGPRsForWavesPerEU: 15
; AccumOffset: 16
; Occupancy: 8
; WaveLimiterHint : 0
; COMPUTE_PGM_RSRC2:SCRATCH_EN: 0
; COMPUTE_PGM_RSRC2:USER_SGPR: 6
; COMPUTE_PGM_RSRC2:TRAP_HANDLER: 0
; COMPUTE_PGM_RSRC2:TGID_X_EN: 1
; COMPUTE_PGM_RSRC2:TGID_Y_EN: 1
; COMPUTE_PGM_RSRC2:TGID_Z_EN: 1
; COMPUTE_PGM_RSRC2:TIDIG_COMP_CNT: 2
; COMPUTE_PGM_RSRC3_GFX90A:ACCUM_OFFSET: 3
; COMPUTE_PGM_RSRC3_GFX90A:TG_SPLIT: 0
	.text
	.p2alignl 6, 3212836864
	.fill 256, 4, 3212836864
	.type	__hip_cuid_690e1841137a1e62,@object ; @__hip_cuid_690e1841137a1e62
	.section	.bss,"aw",@nobits
	.globl	__hip_cuid_690e1841137a1e62
__hip_cuid_690e1841137a1e62:
	.byte	0                               ; 0x0
	.size	__hip_cuid_690e1841137a1e62, 1

	.ident	"AMD clang version 19.0.0git (https://github.com/RadeonOpenCompute/llvm-project roc-6.4.0 25133 c7fe45cf4b819c5991fe208aaa96edf142730f1d)"
	.section	".note.GNU-stack","",@progbits
	.addrsig
	.addrsig_sym __hip_cuid_690e1841137a1e62
	.amdgpu_metadata
---
amdhsa.kernels:
  - .agpr_count:     0
    .args:
      - .address_space:  global
        .offset:         0
        .size:           8
        .value_kind:     global_buffer
      - .address_space:  global
        .offset:         8
        .size:           8
        .value_kind:     global_buffer
      - .offset:         16
        .size:           4
        .value_kind:     by_value
      - .offset:         24
        .size:           8
        .value_kind:     by_value
      - .offset:         32
        .size:           8
        .value_kind:     by_value
      - .offset:         40
        .size:           4
        .value_kind:     hidden_block_count_x
      - .offset:         44
        .size:           4
        .value_kind:     hidden_block_count_y
      - .offset:         48
        .size:           4
        .value_kind:     hidden_block_count_z
      - .offset:         52
        .size:           2
        .value_kind:     hidden_group_size_x
      - .offset:         54
        .size:           2
        .value_kind:     hidden_group_size_y
      - .offset:         56
        .size:           2
        .value_kind:     hidden_group_size_z
      - .offset:         58
        .size:           2
        .value_kind:     hidden_remainder_x
      - .offset:         60
        .size:           2
        .value_kind:     hidden_remainder_y
      - .offset:         62
        .size:           2
        .value_kind:     hidden_remainder_z
      - .offset:         80
        .size:           8
        .value_kind:     hidden_global_offset_x
      - .offset:         88
        .size:           8
        .value_kind:     hidden_global_offset_y
      - .offset:         96
        .size:           8
        .value_kind:     hidden_global_offset_z
      - .offset:         104
        .size:           2
        .value_kind:     hidden_grid_dims
    .group_segment_fixed_size: 0
    .kernarg_segment_align: 8
    .kernarg_segment_size: 296
    .language:       OpenCL C
    .language_version:
      - 2
      - 0
    .max_flat_workgroup_size: 1024
    .name:           _Z19kernel_gpupcg_setupPmS_imm
    .private_segment_fixed_size: 0
    .sgpr_count:     16
    .sgpr_spill_count: 0
    .symbol:         _Z19kernel_gpupcg_setupPmS_imm.kd
    .uniform_work_group_size: 1
    .uses_dynamic_stack: false
    .vgpr_count:     10
    .vgpr_spill_count: 0
    .wavefront_size: 64
  - .agpr_count:     0
    .args:
      - .offset:         0
        .size:           4
        .value_kind:     by_value
      - .offset:         4
        .size:           4
        .value_kind:     by_value
      - .address_space:  global
        .offset:         8
        .size:           8
        .value_kind:     global_buffer
      - .address_space:  global
        .offset:         16
        .size:           8
        .value_kind:     global_buffer
      - .offset:         24
        .size:           4
        .value_kind:     by_value
      - .offset:         28
        .size:           4
        .value_kind:     by_value
      - .address_space:  global
        .offset:         32
        .size:           8
        .value_kind:     global_buffer
      - .address_space:  global
        .offset:         40
        .size:           8
        .value_kind:     global_buffer
      - .offset:         48
        .size:           4
        .value_kind:     by_value
      - .offset:         56
        .size:           4
        .value_kind:     hidden_block_count_x
      - .offset:         60
        .size:           4
        .value_kind:     hidden_block_count_y
      - .offset:         64
        .size:           4
        .value_kind:     hidden_block_count_z
      - .offset:         68
        .size:           2
        .value_kind:     hidden_group_size_x
      - .offset:         70
        .size:           2
        .value_kind:     hidden_group_size_y
      - .offset:         72
        .size:           2
        .value_kind:     hidden_group_size_z
      - .offset:         74
        .size:           2
        .value_kind:     hidden_remainder_x
      - .offset:         76
        .size:           2
        .value_kind:     hidden_remainder_y
      - .offset:         78
        .size:           2
        .value_kind:     hidden_remainder_z
      - .offset:         96
        .size:           8
        .value_kind:     hidden_global_offset_x
      - .offset:         104
        .size:           8
        .value_kind:     hidden_global_offset_y
      - .offset:         112
        .size:           8
        .value_kind:     hidden_global_offset_z
      - .offset:         120
        .size:           2
        .value_kind:     hidden_grid_dims
    .group_segment_fixed_size: 4320
    .kernarg_segment_align: 8
    .kernarg_segment_size: 312
    .language:       OpenCL C
    .language_version:
      - 2
      - 0
    .max_flat_workgroup_size: 1024
    .name:           _Z17kernel_metropolisiiPiPKiffPmS2_i
    .private_segment_fixed_size: 0
    .sgpr_count:     23
    .sgpr_spill_count: 0
    .symbol:         _Z17kernel_metropolisiiPiPKiffPmS2_i.kd
    .uniform_work_group_size: 1
    .uses_dynamic_stack: false
    .vgpr_count:     34
    .vgpr_spill_count: 0
    .wavefront_size: 64
  - .agpr_count:     0
    .args:
      - .address_space:  global
        .offset:         0
        .size:           8
        .value_kind:     global_buffer
      - .offset:         8
        .size:           4
        .value_kind:     by_value
      - .address_space:  global
        .offset:         16
        .size:           8
        .value_kind:     global_buffer
      - .address_space:  global
        .offset:         24
        .size:           8
        .value_kind:     global_buffer
      - .offset:         32
        .size:           4
        .value_kind:     hidden_block_count_x
      - .offset:         36
        .size:           4
        .value_kind:     hidden_block_count_y
      - .offset:         40
        .size:           4
        .value_kind:     hidden_block_count_z
      - .offset:         44
        .size:           2
        .value_kind:     hidden_group_size_x
      - .offset:         46
        .size:           2
        .value_kind:     hidden_group_size_y
      - .offset:         48
        .size:           2
        .value_kind:     hidden_group_size_z
      - .offset:         50
        .size:           2
        .value_kind:     hidden_remainder_x
      - .offset:         52
        .size:           2
        .value_kind:     hidden_remainder_y
      - .offset:         54
        .size:           2
        .value_kind:     hidden_remainder_z
      - .offset:         72
        .size:           8
        .value_kind:     hidden_global_offset_x
      - .offset:         80
        .size:           8
        .value_kind:     hidden_global_offset_y
      - .offset:         88
        .size:           8
        .value_kind:     hidden_global_offset_z
      - .offset:         96
        .size:           2
        .value_kind:     hidden_grid_dims
    .group_segment_fixed_size: 0
    .kernarg_segment_align: 8
    .kernarg_segment_size: 288
    .language:       OpenCL C
    .language_version:
      - 2
      - 0
    .max_flat_workgroup_size: 1024
    .name:           _Z26kernel_reset_random_gpupcgPiiPmS0_
    .private_segment_fixed_size: 0
    .sgpr_count:     16
    .sgpr_spill_count: 0
    .symbol:         _Z26kernel_reset_random_gpupcgPiiPmS0_.kd
    .uniform_work_group_size: 1
    .uses_dynamic_stack: false
    .vgpr_count:     24
    .vgpr_spill_count: 0
    .wavefront_size: 64
  - .agpr_count:     0
    .args:
      - .address_space:  global
        .offset:         0
        .size:           8
        .value_kind:     global_buffer
      - .offset:         8
        .size:           4
        .value_kind:     by_value
      - .offset:         12
        .size:           4
        .value_kind:     by_value
      - .offset:         16
        .size:           4
        .value_kind:     hidden_block_count_x
      - .offset:         20
        .size:           4
        .value_kind:     hidden_block_count_y
      - .offset:         24
        .size:           4
        .value_kind:     hidden_block_count_z
      - .offset:         28
        .size:           2
        .value_kind:     hidden_group_size_x
      - .offset:         30
        .size:           2
        .value_kind:     hidden_group_size_y
      - .offset:         32
        .size:           2
        .value_kind:     hidden_group_size_z
      - .offset:         34
        .size:           2
        .value_kind:     hidden_remainder_x
      - .offset:         36
        .size:           2
        .value_kind:     hidden_remainder_y
      - .offset:         38
        .size:           2
        .value_kind:     hidden_remainder_z
      - .offset:         56
        .size:           8
        .value_kind:     hidden_global_offset_x
      - .offset:         64
        .size:           8
        .value_kind:     hidden_global_offset_y
      - .offset:         72
        .size:           8
        .value_kind:     hidden_global_offset_z
      - .offset:         80
        .size:           2
        .value_kind:     hidden_grid_dims
    .group_segment_fixed_size: 0
    .kernarg_segment_align: 8
    .kernarg_segment_size: 272
    .language:       OpenCL C
    .language_version:
      - 2
      - 0
    .max_flat_workgroup_size: 1024
    .name:           _Z12kernel_resetIiEvPT_iS0_
    .private_segment_fixed_size: 0
    .sgpr_count:     11
    .sgpr_spill_count: 0
    .symbol:         _Z12kernel_resetIiEvPT_iS0_.kd
    .uniform_work_group_size: 1
    .uses_dynamic_stack: false
    .vgpr_count:     3
    .vgpr_spill_count: 0
    .wavefront_size: 64
  - .agpr_count:     0
    .args:
      - .address_space:  global
        .offset:         0
        .size:           8
        .value_kind:     global_buffer
      - .offset:         8
        .size:           4
        .value_kind:     by_value
      - .offset:         12
        .size:           4
        .value_kind:     by_value
      - .offset:         16
        .size:           4
        .value_kind:     hidden_block_count_x
      - .offset:         20
        .size:           4
        .value_kind:     hidden_block_count_y
      - .offset:         24
        .size:           4
        .value_kind:     hidden_block_count_z
      - .offset:         28
        .size:           2
        .value_kind:     hidden_group_size_x
      - .offset:         30
        .size:           2
        .value_kind:     hidden_group_size_y
      - .offset:         32
        .size:           2
        .value_kind:     hidden_group_size_z
      - .offset:         34
        .size:           2
        .value_kind:     hidden_remainder_x
      - .offset:         36
        .size:           2
        .value_kind:     hidden_remainder_y
      - .offset:         38
        .size:           2
        .value_kind:     hidden_remainder_z
      - .offset:         56
        .size:           8
        .value_kind:     hidden_global_offset_x
      - .offset:         64
        .size:           8
        .value_kind:     hidden_global_offset_y
      - .offset:         72
        .size:           8
        .value_kind:     hidden_global_offset_z
      - .offset:         80
        .size:           2
        .value_kind:     hidden_grid_dims
    .group_segment_fixed_size: 0
    .kernarg_segment_align: 8
    .kernarg_segment_size: 272
    .language:       OpenCL C
    .language_version:
      - 2
      - 0
    .max_flat_workgroup_size: 1024
    .name:           _Z12kernel_resetIfEvPT_iS0_
    .private_segment_fixed_size: 0
    .sgpr_count:     11
    .sgpr_spill_count: 0
    .symbol:         _Z12kernel_resetIfEvPT_iS0_.kd
    .uniform_work_group_size: 1
    .uses_dynamic_stack: false
    .vgpr_count:     3
    .vgpr_spill_count: 0
    .wavefront_size: 64
  - .agpr_count:     0
    .args:
      - .address_space:  global
        .offset:         0
        .size:           8
        .value_kind:     global_buffer
      - .offset:         8
        .size:           4
        .value_kind:     by_value
      - .address_space:  global
        .offset:         16
        .size:           8
        .value_kind:     global_buffer
      - .address_space:  global
        .offset:         24
        .size:           8
        .value_kind:     global_buffer
      - .offset:         32
        .size:           4
        .value_kind:     by_value
      - .offset:         40
        .size:           4
        .value_kind:     hidden_block_count_x
      - .offset:         44
        .size:           4
        .value_kind:     hidden_block_count_y
      - .offset:         48
        .size:           4
        .value_kind:     hidden_block_count_z
      - .offset:         52
        .size:           2
        .value_kind:     hidden_group_size_x
      - .offset:         54
        .size:           2
        .value_kind:     hidden_group_size_y
      - .offset:         56
        .size:           2
        .value_kind:     hidden_group_size_z
      - .offset:         58
        .size:           2
        .value_kind:     hidden_remainder_x
      - .offset:         60
        .size:           2
        .value_kind:     hidden_remainder_y
      - .offset:         62
        .size:           2
        .value_kind:     hidden_remainder_z
      - .offset:         80
        .size:           8
        .value_kind:     hidden_global_offset_x
      - .offset:         88
        .size:           8
        .value_kind:     hidden_global_offset_y
      - .offset:         96
        .size:           8
        .value_kind:     hidden_global_offset_z
      - .offset:         104
        .size:           2
        .value_kind:     hidden_grid_dims
    .group_segment_fixed_size: 128
    .kernarg_segment_align: 8
    .kernarg_segment_size: 296
    .language:       OpenCL C
    .language_version:
      - 2
      - 0
    .max_flat_workgroup_size: 1024
    .name:           _Z16kernel_redenergyIfEvPKiiPT_S1_f
    .private_segment_fixed_size: 0
    .sgpr_count:     20
    .sgpr_spill_count: 0
    .symbol:         _Z16kernel_redenergyIfEvPKiiPT_S1_f.kd
    .uniform_work_group_size: 1
    .uses_dynamic_stack: false
    .vgpr_count:     15
    .vgpr_spill_count: 0
    .wavefront_size: 64
amdhsa.target:   amdgcn-amd-amdhsa--gfx90a
amdhsa.version:
  - 1
  - 2
...

	.end_amdgpu_metadata
